;; amdgpu-corpus repo=ROCm/rocFFT kind=compiled arch=gfx906 opt=O3
	.text
	.amdgcn_target "amdgcn-amd-amdhsa--gfx906"
	.amdhsa_code_object_version 6
	.protected	fft_rtc_back_len154_factors_11_7_2_wgs_110_tpt_22_half_op_CI_CI_sbrr_dirReg ; -- Begin function fft_rtc_back_len154_factors_11_7_2_wgs_110_tpt_22_half_op_CI_CI_sbrr_dirReg
	.globl	fft_rtc_back_len154_factors_11_7_2_wgs_110_tpt_22_half_op_CI_CI_sbrr_dirReg
	.p2align	8
	.type	fft_rtc_back_len154_factors_11_7_2_wgs_110_tpt_22_half_op_CI_CI_sbrr_dirReg,@function
fft_rtc_back_len154_factors_11_7_2_wgs_110_tpt_22_half_op_CI_CI_sbrr_dirReg: ; @fft_rtc_back_len154_factors_11_7_2_wgs_110_tpt_22_half_op_CI_CI_sbrr_dirReg
; %bb.0:
	s_load_dwordx4 s[16:19], s[4:5], 0x18
	s_load_dwordx4 s[12:15], s[4:5], 0x0
	;; [unrolled: 1-line block ×3, first 2 shown]
	v_mul_u32_u24_e32 v1, 0xba3, v0
	v_lshrrev_b32_e32 v1, 16, v1
	v_mad_u64_u32 v[8:9], s[0:1], s6, 5, v[1:2]
	s_waitcnt lgkmcnt(0)
	s_load_dwordx2 s[22:23], s[16:17], 0x0
	s_load_dwordx2 s[20:21], s[18:19], 0x0
	v_mov_b32_e32 v10, 0
	v_cmp_lt_u64_e64 s[0:1], s[14:15], 2
	v_mov_b32_e32 v6, 0
	v_mov_b32_e32 v9, v10
	;; [unrolled: 1-line block ×5, first 2 shown]
	s_and_b64 vcc, exec, s[0:1]
	v_mov_b32_e32 v2, v7
	v_mov_b32_e32 v4, v9
	s_cbranch_vccnz .LBB0_8
; %bb.1:
	s_load_dwordx2 s[0:1], s[4:5], 0x10
	s_add_u32 s2, s18, 8
	s_addc_u32 s3, s19, 0
	s_add_u32 s6, s16, 8
	s_addc_u32 s7, s17, 0
	v_mov_b32_e32 v6, 0
	s_waitcnt lgkmcnt(0)
	s_add_u32 s24, s0, 8
	v_mov_b32_e32 v7, 0
	v_mov_b32_e32 v1, v6
	;; [unrolled: 1-line block ×3, first 2 shown]
	s_addc_u32 s25, s1, 0
	s_mov_b64 s[26:27], 1
	v_mov_b32_e32 v2, v7
	v_mov_b32_e32 v12, v8
.LBB0_2:                                ; =>This Inner Loop Header: Depth=1
	s_load_dwordx2 s[28:29], s[24:25], 0x0
                                        ; implicit-def: $vgpr3_vgpr4
	s_waitcnt lgkmcnt(0)
	v_or_b32_e32 v11, s29, v13
	v_cmp_ne_u64_e32 vcc, 0, v[10:11]
	s_and_saveexec_b64 s[0:1], vcc
	s_xor_b64 s[30:31], exec, s[0:1]
	s_cbranch_execz .LBB0_4
; %bb.3:                                ;   in Loop: Header=BB0_2 Depth=1
	v_cvt_f32_u32_e32 v3, s28
	v_cvt_f32_u32_e32 v4, s29
	s_sub_u32 s0, 0, s28
	s_subb_u32 s1, 0, s29
	v_mac_f32_e32 v3, 0x4f800000, v4
	v_rcp_f32_e32 v3, v3
	v_mul_f32_e32 v3, 0x5f7ffffc, v3
	v_mul_f32_e32 v4, 0x2f800000, v3
	v_trunc_f32_e32 v4, v4
	v_mac_f32_e32 v3, 0xcf800000, v4
	v_cvt_u32_f32_e32 v4, v4
	v_cvt_u32_f32_e32 v3, v3
	v_mul_lo_u32 v5, s0, v4
	v_mul_hi_u32 v9, s0, v3
	v_mul_lo_u32 v14, s1, v3
	v_mul_lo_u32 v11, s0, v3
	v_add_u32_e32 v5, v9, v5
	v_add_u32_e32 v5, v5, v14
	v_mul_hi_u32 v9, v3, v11
	v_mul_lo_u32 v14, v3, v5
	v_mul_hi_u32 v16, v3, v5
	v_mul_hi_u32 v15, v4, v11
	v_mul_lo_u32 v11, v4, v11
	v_mul_hi_u32 v17, v4, v5
	v_add_co_u32_e32 v9, vcc, v9, v14
	v_addc_co_u32_e32 v14, vcc, 0, v16, vcc
	v_mul_lo_u32 v5, v4, v5
	v_add_co_u32_e32 v9, vcc, v9, v11
	v_addc_co_u32_e32 v9, vcc, v14, v15, vcc
	v_addc_co_u32_e32 v11, vcc, 0, v17, vcc
	v_add_co_u32_e32 v5, vcc, v9, v5
	v_addc_co_u32_e32 v9, vcc, 0, v11, vcc
	v_add_co_u32_e32 v3, vcc, v3, v5
	v_addc_co_u32_e32 v4, vcc, v4, v9, vcc
	v_mul_lo_u32 v5, s0, v4
	v_mul_hi_u32 v9, s0, v3
	v_mul_lo_u32 v11, s1, v3
	v_mul_lo_u32 v14, s0, v3
	v_add_u32_e32 v5, v9, v5
	v_add_u32_e32 v5, v5, v11
	v_mul_lo_u32 v15, v3, v5
	v_mul_hi_u32 v16, v3, v14
	v_mul_hi_u32 v17, v3, v5
	;; [unrolled: 1-line block ×3, first 2 shown]
	v_mul_lo_u32 v14, v4, v14
	v_mul_hi_u32 v9, v4, v5
	v_add_co_u32_e32 v15, vcc, v16, v15
	v_addc_co_u32_e32 v16, vcc, 0, v17, vcc
	v_mul_lo_u32 v5, v4, v5
	v_add_co_u32_e32 v14, vcc, v15, v14
	v_addc_co_u32_e32 v11, vcc, v16, v11, vcc
	v_addc_co_u32_e32 v9, vcc, 0, v9, vcc
	v_add_co_u32_e32 v5, vcc, v11, v5
	v_addc_co_u32_e32 v9, vcc, 0, v9, vcc
	v_add_co_u32_e32 v5, vcc, v3, v5
	v_addc_co_u32_e32 v9, vcc, v4, v9, vcc
	v_mad_u64_u32 v[3:4], s[0:1], v12, v9, 0
	v_mul_hi_u32 v11, v12, v5
	v_mad_u64_u32 v[14:15], s[0:1], v13, v9, 0
	v_add_co_u32_e32 v11, vcc, v11, v3
	v_addc_co_u32_e32 v16, vcc, 0, v4, vcc
	v_mad_u64_u32 v[3:4], s[0:1], v13, v5, 0
	v_add_co_u32_e32 v3, vcc, v11, v3
	v_addc_co_u32_e32 v3, vcc, v16, v4, vcc
	v_addc_co_u32_e32 v4, vcc, 0, v15, vcc
	v_add_co_u32_e32 v5, vcc, v3, v14
	v_addc_co_u32_e32 v9, vcc, 0, v4, vcc
	v_mul_lo_u32 v11, s29, v5
	v_mul_lo_u32 v14, s28, v9
	v_mad_u64_u32 v[3:4], s[0:1], s28, v5, 0
	v_add3_u32 v4, v4, v14, v11
	v_sub_u32_e32 v11, v13, v4
	v_mov_b32_e32 v14, s29
	v_sub_co_u32_e32 v3, vcc, v12, v3
	v_subb_co_u32_e64 v11, s[0:1], v11, v14, vcc
	v_subrev_co_u32_e64 v14, s[0:1], s28, v3
	v_subbrev_co_u32_e64 v11, s[0:1], 0, v11, s[0:1]
	v_cmp_le_u32_e64 s[0:1], s29, v11
	v_cndmask_b32_e64 v15, 0, -1, s[0:1]
	v_cmp_le_u32_e64 s[0:1], s28, v14
	v_cndmask_b32_e64 v14, 0, -1, s[0:1]
	v_cmp_eq_u32_e64 s[0:1], s29, v11
	v_cndmask_b32_e64 v11, v15, v14, s[0:1]
	v_add_co_u32_e64 v14, s[0:1], 2, v5
	v_addc_co_u32_e64 v15, s[0:1], 0, v9, s[0:1]
	v_add_co_u32_e64 v16, s[0:1], 1, v5
	v_addc_co_u32_e64 v17, s[0:1], 0, v9, s[0:1]
	v_subb_co_u32_e32 v4, vcc, v13, v4, vcc
	v_cmp_ne_u32_e64 s[0:1], 0, v11
	v_cmp_le_u32_e32 vcc, s29, v4
	v_cndmask_b32_e64 v11, v17, v15, s[0:1]
	v_cndmask_b32_e64 v15, 0, -1, vcc
	v_cmp_le_u32_e32 vcc, s28, v3
	v_cndmask_b32_e64 v3, 0, -1, vcc
	v_cmp_eq_u32_e32 vcc, s29, v4
	v_cndmask_b32_e32 v3, v15, v3, vcc
	v_cmp_ne_u32_e32 vcc, 0, v3
	v_cndmask_b32_e64 v3, v16, v14, s[0:1]
	v_cndmask_b32_e32 v4, v9, v11, vcc
	v_cndmask_b32_e32 v3, v5, v3, vcc
.LBB0_4:                                ;   in Loop: Header=BB0_2 Depth=1
	s_andn2_saveexec_b64 s[0:1], s[30:31]
	s_cbranch_execz .LBB0_6
; %bb.5:                                ;   in Loop: Header=BB0_2 Depth=1
	v_cvt_f32_u32_e32 v3, s28
	s_sub_i32 s30, 0, s28
	v_rcp_iflag_f32_e32 v3, v3
	v_mul_f32_e32 v3, 0x4f7ffffe, v3
	v_cvt_u32_f32_e32 v3, v3
	v_mul_lo_u32 v4, s30, v3
	v_mul_hi_u32 v4, v3, v4
	v_add_u32_e32 v3, v3, v4
	v_mul_hi_u32 v3, v12, v3
	v_mul_lo_u32 v4, v3, s28
	v_add_u32_e32 v5, 1, v3
	v_sub_u32_e32 v4, v12, v4
	v_subrev_u32_e32 v9, s28, v4
	v_cmp_le_u32_e32 vcc, s28, v4
	v_cndmask_b32_e32 v4, v4, v9, vcc
	v_cndmask_b32_e32 v3, v3, v5, vcc
	v_add_u32_e32 v5, 1, v3
	v_cmp_le_u32_e32 vcc, s28, v4
	v_cndmask_b32_e32 v3, v3, v5, vcc
	v_mov_b32_e32 v4, v10
.LBB0_6:                                ;   in Loop: Header=BB0_2 Depth=1
	s_or_b64 exec, exec, s[0:1]
	v_mul_lo_u32 v5, v4, s28
	v_mul_lo_u32 v9, v3, s29
	v_mad_u64_u32 v[14:15], s[0:1], v3, s28, 0
	s_load_dwordx2 s[0:1], s[6:7], 0x0
	s_load_dwordx2 s[28:29], s[2:3], 0x0
	v_add3_u32 v5, v15, v9, v5
	v_sub_co_u32_e32 v9, vcc, v12, v14
	v_subb_co_u32_e32 v5, vcc, v13, v5, vcc
	s_waitcnt lgkmcnt(0)
	v_mul_lo_u32 v11, s0, v5
	v_mul_lo_u32 v12, s1, v9
	v_mad_u64_u32 v[6:7], s[0:1], s0, v9, v[6:7]
	s_add_u32 s26, s26, 1
	s_addc_u32 s27, s27, 0
	s_add_u32 s2, s2, 8
	v_mul_lo_u32 v5, s28, v5
	v_mul_lo_u32 v13, s29, v9
	v_mad_u64_u32 v[1:2], s[0:1], s28, v9, v[1:2]
	v_add3_u32 v7, v12, v7, v11
	s_addc_u32 s3, s3, 0
	v_mov_b32_e32 v11, s14
	s_add_u32 s6, s6, 8
	v_mov_b32_e32 v12, s15
	s_addc_u32 s7, s7, 0
	v_cmp_ge_u64_e32 vcc, s[26:27], v[11:12]
	s_add_u32 s24, s24, 8
	v_add3_u32 v2, v13, v2, v5
	s_addc_u32 s25, s25, 0
	s_cbranch_vccnz .LBB0_8
; %bb.7:                                ;   in Loop: Header=BB0_2 Depth=1
	v_mov_b32_e32 v13, v4
	v_mov_b32_e32 v12, v3
	s_branch .LBB0_2
.LBB0_8:
	s_mov_b32 s2, 0xcccccccd
	s_load_dwordx2 s[0:1], s[4:5], 0x28
	v_mul_hi_u32 v5, v8, s2
	s_lshl_b64 s[6:7], s[14:15], 3
	s_add_u32 s2, s18, s6
	s_addc_u32 s3, s19, s7
	v_lshrrev_b32_e32 v5, 2, v5
	v_lshl_add_u32 v5, v5, 2, v5
	s_waitcnt lgkmcnt(0)
	v_cmp_gt_u64_e32 vcc, s[0:1], v[3:4]
	v_cmp_le_u64_e64 s[0:1], s[0:1], v[3:4]
	v_sub_u32_e32 v8, v8, v5
                                        ; implicit-def: $vgpr5
	s_and_saveexec_b64 s[4:5], s[0:1]
	s_xor_b64 s[0:1], exec, s[4:5]
; %bb.9:
	s_mov_b32 s4, 0xba2e8bb
	v_mul_hi_u32 v5, v0, s4
                                        ; implicit-def: $vgpr6_vgpr7
	v_mul_u32_u24_e32 v5, 22, v5
	v_sub_u32_e32 v5, v0, v5
                                        ; implicit-def: $vgpr0
; %bb.10:
	s_or_saveexec_b64 s[4:5], s[0:1]
	v_mul_u32_u24_e32 v17, 0x9a, v8
	v_lshlrev_b32_e32 v18, 2, v17
	s_xor_b64 exec, exec, s[4:5]
	s_cbranch_execz .LBB0_12
; %bb.11:
	s_add_u32 s0, s16, s6
	s_mov_b32 s6, 0xba2e8bb
	v_mul_hi_u32 v5, v0, s6
	s_addc_u32 s1, s17, s7
	s_load_dwordx2 s[0:1], s[0:1], 0x0
	v_lshlrev_b64 v[6:7], 2, v[6:7]
	v_mul_u32_u24_e32 v5, 22, v5
	v_sub_u32_e32 v5, v0, v5
	v_mad_u64_u32 v[8:9], s[6:7], s22, v5, 0
	s_waitcnt lgkmcnt(0)
	v_mul_lo_u32 v14, s1, v3
	v_mul_lo_u32 v15, s0, v4
	v_mad_u64_u32 v[10:11], s[0:1], s0, v3, 0
	v_mov_b32_e32 v0, v9
	v_mad_u64_u32 v[12:13], s[0:1], s23, v5, v[0:1]
	v_add3_u32 v11, v11, v15, v14
	v_lshlrev_b64 v[10:11], 2, v[10:11]
	v_mov_b32_e32 v9, v12
	v_mov_b32_e32 v0, s9
	v_add_co_u32_e64 v12, s[0:1], s8, v10
	v_add_u32_e32 v13, 22, v5
	v_addc_co_u32_e64 v0, s[0:1], v0, v11, s[0:1]
	v_mad_u64_u32 v[10:11], s[0:1], s22, v13, 0
	v_add_co_u32_e64 v25, s[0:1], v12, v6
	v_addc_co_u32_e64 v26, s[0:1], v0, v7, s[0:1]
	v_mov_b32_e32 v0, v11
	v_add_u32_e32 v14, 44, v5
	v_lshlrev_b64 v[6:7], 2, v[8:9]
	v_mad_u64_u32 v[8:9], s[0:1], s23, v13, v[0:1]
	v_mad_u64_u32 v[12:13], s[0:1], s22, v14, 0
	v_add_co_u32_e64 v6, s[0:1], v25, v6
	v_mov_b32_e32 v11, v8
	v_mov_b32_e32 v0, v13
	v_add_u32_e32 v16, 0x42, v5
	v_addc_co_u32_e64 v7, s[0:1], v26, v7, s[0:1]
	v_lshlrev_b64 v[8:9], 2, v[10:11]
	v_mad_u64_u32 v[10:11], s[0:1], s23, v14, v[0:1]
	v_mad_u64_u32 v[14:15], s[0:1], s22, v16, 0
	v_add_co_u32_e64 v8, s[0:1], v25, v8
	v_mov_b32_e32 v13, v10
	v_mov_b32_e32 v0, v15
	v_addc_co_u32_e64 v9, s[0:1], v26, v9, s[0:1]
	v_lshlrev_b64 v[10:11], 2, v[12:13]
	v_mad_u64_u32 v[12:13], s[0:1], s23, v16, v[0:1]
	v_add_u32_e32 v16, 0x58, v5
	v_mad_u64_u32 v[19:20], s[0:1], s22, v16, 0
	v_add_co_u32_e64 v10, s[0:1], v25, v10
	v_mov_b32_e32 v15, v12
	v_mov_b32_e32 v0, v20
	v_addc_co_u32_e64 v11, s[0:1], v26, v11, s[0:1]
	v_lshlrev_b64 v[12:13], 2, v[14:15]
	v_mad_u64_u32 v[14:15], s[0:1], s23, v16, v[0:1]
	v_add_u32_e32 v21, 0x6e, v5
	v_mad_u64_u32 v[15:16], s[0:1], s22, v21, 0
	v_add_co_u32_e64 v12, s[0:1], v25, v12
	v_mov_b32_e32 v0, v16
	v_addc_co_u32_e64 v13, s[0:1], v26, v13, s[0:1]
	v_mad_u64_u32 v[21:22], s[0:1], s23, v21, v[0:1]
	v_add_u32_e32 v24, 0x84, v5
	v_mad_u64_u32 v[22:23], s[0:1], s22, v24, 0
	v_mov_b32_e32 v20, v14
	v_lshlrev_b64 v[19:20], 2, v[19:20]
	v_mov_b32_e32 v0, v23
	v_add_co_u32_e64 v19, s[0:1], v25, v19
	v_addc_co_u32_e64 v20, s[0:1], v26, v20, s[0:1]
	v_mad_u64_u32 v[23:24], s[0:1], s23, v24, v[0:1]
	v_mov_b32_e32 v16, v21
	v_lshlrev_b64 v[14:15], 2, v[15:16]
	v_lshlrev_b64 v[21:22], 2, v[22:23]
	v_add_co_u32_e64 v14, s[0:1], v25, v14
	v_addc_co_u32_e64 v15, s[0:1], v26, v15, s[0:1]
	v_add_co_u32_e64 v21, s[0:1], v25, v21
	v_addc_co_u32_e64 v22, s[0:1], v26, v22, s[0:1]
	global_load_dword v0, v[6:7], off
	global_load_dword v16, v[8:9], off
	;; [unrolled: 1-line block ×7, first 2 shown]
	v_lshlrev_b32_e32 v6, 2, v5
	v_add3_u32 v6, 0, v18, v6
	s_waitcnt vmcnt(5)
	ds_write2_b32 v6, v0, v16 offset1:22
	s_waitcnt vmcnt(3)
	ds_write2_b32 v6, v23, v24 offset0:44 offset1:66
	s_waitcnt vmcnt(1)
	ds_write2_b32 v6, v25, v26 offset0:88 offset1:110
	s_waitcnt vmcnt(0)
	ds_write_b32 v6, v27 offset:528
.LBB0_12:
	s_or_b64 exec, exec, s[4:5]
	v_lshlrev_b32_e32 v8, 2, v5
	v_add_u32_e32 v20, 0, v8
	v_add_u32_e32 v19, v20, v18
	s_waitcnt lgkmcnt(0)
	s_barrier
	ds_read2_b32 v[11:12], v19 offset0:14 offset1:28
	ds_read2_b32 v[6:7], v19 offset0:126 offset1:140
	v_add_u32_e32 v0, 0, v18
	v_add_u32_e32 v22, v0, v8
	ds_read_b32 v29, v22
	ds_read2_b32 v[13:14], v19 offset0:42 offset1:56
	ds_read2_b32 v[9:10], v19 offset0:98 offset1:112
	s_mov_b32 s6, 0xba0c
	s_waitcnt lgkmcnt(3)
	v_pk_add_f16 v23, v11, v7 neg_lo:[0,1] neg_hi:[0,1]
	v_pk_add_f16 v30, v7, v11
	s_mov_b32 s9, 0xb93d
	v_mul_f16_sdwa v35, v23, s6 dst_sel:DWORD dst_unused:UNUSED_PAD src0_sel:WORD_1 src1_sel:DWORD
	v_pk_add_f16 v24, v12, v6 neg_lo:[0,1] neg_hi:[0,1]
	s_movk_i32 s19, 0x3beb
	v_mul_f16_sdwa v38, v30, s9 dst_sel:DWORD dst_unused:UNUSED_PAD src0_sel:WORD_1 src1_sel:DWORD
	v_fma_f16 v8, v30, s9, -v35
	v_pk_add_f16 v31, v6, v12
	s_mov_b32 s14, 0xb08e
	v_mul_f16_sdwa v36, v24, s19 dst_sel:DWORD dst_unused:UNUSED_PAD src0_sel:WORD_1 src1_sel:DWORD
	s_waitcnt lgkmcnt(2)
	v_add_f16_e32 v8, v8, v29
	v_fma_f16 v15, v23, s6, v38
	v_mul_f16_sdwa v40, v31, s14 dst_sel:DWORD dst_unused:UNUSED_PAD src0_sel:WORD_1 src1_sel:DWORD
	v_fma_f16 v16, v31, s14, -v36
	s_waitcnt lgkmcnt(0)
	v_pk_add_f16 v25, v13, v10 neg_lo:[0,1] neg_hi:[0,1]
	s_mov_b32 s17, 0xb853
	v_add_f16_sdwa v15, v15, v29 dst_sel:DWORD dst_unused:UNUSED_PAD src0_sel:DWORD src1_sel:WORD_1
	v_add_f16_e32 v8, v16, v8
	v_fma_f16 v16, v24, s19, v40
	v_pk_add_f16 v32, v10, v13
	s_movk_i32 s15, 0x3abb
	v_mul_f16_sdwa v37, v25, s17 dst_sel:DWORD dst_unused:UNUSED_PAD src0_sel:WORD_1 src1_sel:DWORD
	v_add_f16_e32 v15, v16, v15
	v_fma_f16 v16, v32, s15, -v37
	v_mul_f16_sdwa v41, v32, s15 dst_sel:DWORD dst_unused:UNUSED_PAD src0_sel:WORD_1 src1_sel:DWORD
	s_mov_b32 s7, 0xb482
	v_pk_add_f16 v26, v14, v9 neg_lo:[0,1] neg_hi:[0,1]
	v_add_f16_e32 v8, v16, v8
	v_fma_f16 v16, v25, s17, v41
	s_mov_b32 s16, 0xbbad
	v_pk_add_f16 v33, v9, v14
	v_mul_f16_sdwa v39, v26, s7 dst_sel:DWORD dst_unused:UNUSED_PAD src0_sel:WORD_1 src1_sel:DWORD
	v_add_f16_e32 v21, v16, v15
	v_fma_f16 v15, v33, s16, -v39
	v_add_f16_e32 v8, v15, v8
	ds_read2_b32 v[15:16], v19 offset0:70 offset1:84
	v_mul_f16_sdwa v42, v33, s16 dst_sel:DWORD dst_unused:UNUSED_PAD src0_sel:WORD_1 src1_sel:DWORD
	v_fma_f16 v27, v26, s7, v42
	s_movk_i32 s22, 0x36a6
	v_add_f16_e32 v21, v27, v21
	s_waitcnt lgkmcnt(0)
	v_pk_add_f16 v34, v16, v15
	s_movk_i32 s8, 0x3b47
	v_pk_add_f16 v27, v15, v16 neg_lo:[0,1] neg_hi:[0,1]
	v_mul_f16_sdwa v28, v34, s22 dst_sel:DWORD dst_unused:UNUSED_PAD src0_sel:WORD_1 src1_sel:DWORD
	v_fma_f16 v43, v27, s8, v28
	v_add_f16_e32 v21, v43, v21
	v_mul_f16_sdwa v43, v27, s8 dst_sel:DWORD dst_unused:UNUSED_PAD src0_sel:WORD_1 src1_sel:DWORD
	v_fma_f16 v44, v34, s22, -v43
	v_add_f16_e32 v8, v44, v8
	v_cmp_gt_u32_e64 s[0:1], 14, v5
	s_barrier
	s_and_saveexec_b64 s[4:5], s[0:1]
	s_cbranch_execz .LBB0_14
; %bb.13:
	v_pk_mul_f16 v45, v23, s7 op_sel_hi:[1,0]
	v_pk_mul_f16 v46, v30, s16 op_sel_hi:[1,0]
	s_movk_i32 s0, 0x3853
	v_alignbit_b32 v44, v29, v29, 16
	v_pk_mul_f16 v47, v24, s0 op_sel_hi:[1,0]
	v_pk_mul_f16 v48, v31, s15 op_sel_hi:[1,0]
	v_add_f16_sdwa v49, v45, v46 dst_sel:DWORD dst_unused:UNUSED_PAD src0_sel:DWORD src1_sel:WORD_1
	v_add_f16_e32 v49, v49, v44
	v_add_f16_sdwa v50, v47, v48 dst_sel:DWORD dst_unused:UNUSED_PAD src0_sel:DWORD src1_sel:WORD_1
	v_add_f16_e32 v49, v50, v49
	v_pk_mul_f16 v50, v25, s6 op_sel_hi:[1,0]
	v_pk_mul_f16 v51, v32, s9 op_sel_hi:[1,0]
	v_add_f16_sdwa v52, v50, v51 dst_sel:DWORD dst_unused:UNUSED_PAD src0_sel:DWORD src1_sel:WORD_1
	v_add_f16_e32 v49, v52, v49
	v_pk_mul_f16 v52, v26, s8 op_sel_hi:[1,0]
	v_pk_mul_f16 v53, v33, s22 op_sel_hi:[1,0]
	v_add_f16_sdwa v54, v52, v53 dst_sel:DWORD dst_unused:UNUSED_PAD src0_sel:DWORD src1_sel:WORD_1
	s_mov_b32 s1, 0xbbeb
	v_add_f16_e32 v49, v54, v49
	v_pk_mul_f16 v54, v27, s1 op_sel_hi:[1,0]
	v_pk_mul_f16 v55, v34, s14 op_sel_hi:[1,0]
	v_add_f16_sdwa v56, v54, v55 dst_sel:DWORD dst_unused:UNUSED_PAD src0_sel:DWORD src1_sel:WORD_1
	v_add_f16_e32 v49, v56, v49
	s_mov_b32 s18, 0xffff
	v_mul_f16_e32 v56, 0xba0c, v23
	v_bfi_b32 v45, s18, v56, v45
	v_pk_add_f16 v38, v38, v45 neg_lo:[0,1] neg_hi:[0,1]
	v_pk_fma_f16 v45, v23, s7, v46 op_sel:[0,0,1] op_sel_hi:[1,0,0]
	v_bfi_b32 v38, s18, v38, v45
	v_mul_f16_e32 v45, 0x3beb, v24
	v_bfi_b32 v45, s18, v45, v47
	v_pk_add_f16 v40, v40, v45 neg_lo:[0,1] neg_hi:[0,1]
	v_pk_fma_f16 v45, v24, s0, v48 op_sel:[0,0,1] op_sel_hi:[1,0,0]
	v_bfi_b32 v40, s18, v40, v45
	;; [unrolled: 5-line block ×4, first 2 shown]
	v_mul_f16_e32 v45, 0xb93d, v30
	v_add_f16_e32 v35, v45, v35
	v_mul_f16_e32 v45, 0xb08e, v31
	v_add_f16_e32 v36, v45, v36
	v_add_f16_e32 v35, v35, v29
	;; [unrolled: 1-line block ×3, first 2 shown]
	v_mul_f16_e32 v36, 0x3abb, v32
	v_add_f16_e32 v36, v36, v37
	v_add_f16_e32 v35, v36, v35
	v_mul_f16_e32 v36, 0xbbad, v33
	v_add_f16_e32 v36, v36, v39
	v_add_f16_e32 v35, v36, v35
	;; [unrolled: 3-line block ×3, first 2 shown]
	v_mul_f16_sdwa v36, v30, s14 dst_sel:DWORD dst_unused:UNUSED_PAD src0_sel:WORD_1 src1_sel:DWORD
	v_fma_f16 v37, v23, s19, v36
	v_mul_f16_sdwa v39, v31, s16 dst_sel:DWORD dst_unused:UNUSED_PAD src0_sel:WORD_1 src1_sel:DWORD
	v_add_f16_sdwa v37, v37, v29 dst_sel:DWORD dst_unused:UNUSED_PAD src0_sel:DWORD src1_sel:WORD_1
	v_fma_f16 v43, v24, s7, v39
	v_add_f16_e32 v37, v43, v37
	s_mov_b32 s23, 0xbb47
	v_mul_f16_sdwa v43, v32, s22 dst_sel:DWORD dst_unused:UNUSED_PAD src0_sel:WORD_1 src1_sel:DWORD
	v_fma_f16 v45, v25, s23, v43
	v_add_f16_e32 v37, v45, v37
	v_mul_f16_sdwa v45, v33, s15 dst_sel:DWORD dst_unused:UNUSED_PAD src0_sel:WORD_1 src1_sel:DWORD
	v_fma_f16 v47, v26, s0, v45
	v_add_f16_e32 v37, v47, v37
	s_movk_i32 s24, 0x3a0c
	v_mul_f16_sdwa v47, v34, s9 dst_sel:DWORD dst_unused:UNUSED_PAD src0_sel:WORD_1 src1_sel:DWORD
	v_fma_f16 v50, v27, s24, v47
	v_add_f16_e32 v37, v50, v37
	v_mul_f16_sdwa v50, v23, s1 dst_sel:DWORD dst_unused:UNUSED_PAD src0_sel:WORD_1 src1_sel:DWORD
	s_movk_i32 s25, 0x3482
	v_fma_f16 v52, v30, s14, v50
	v_mul_f16_sdwa v56, v24, s25 dst_sel:DWORD dst_unused:UNUSED_PAD src0_sel:WORD_1 src1_sel:DWORD
	v_add_f16_e32 v52, v52, v29
	v_fma_f16 v57, v31, s16, v56
	v_add_f16_e32 v52, v57, v52
	v_mul_f16_sdwa v57, v25, s8 dst_sel:DWORD dst_unused:UNUSED_PAD src0_sel:WORD_1 src1_sel:DWORD
	v_fma_f16 v58, v32, s22, v57
	v_add_f16_e32 v52, v58, v52
	v_mul_f16_sdwa v58, v26, s17 dst_sel:DWORD dst_unused:UNUSED_PAD src0_sel:WORD_1 src1_sel:DWORD
	;; [unrolled: 3-line block ×4, first 2 shown]
	v_fma_f16 v61, v23, s8, v60
	v_mul_f16_sdwa v62, v31, s9 dst_sel:DWORD dst_unused:UNUSED_PAD src0_sel:WORD_1 src1_sel:DWORD
	v_add_f16_sdwa v61, v61, v29 dst_sel:DWORD dst_unused:UNUSED_PAD src0_sel:DWORD src1_sel:WORD_1
	v_fma_f16 v63, v24, s24, v62
	v_add_f16_e32 v61, v63, v61
	v_mul_f16_sdwa v63, v32, s16 dst_sel:DWORD dst_unused:UNUSED_PAD src0_sel:WORD_1 src1_sel:DWORD
	v_fma_f16 v64, v25, s7, v63
	v_add_f16_e32 v61, v64, v61
	v_mul_f16_sdwa v64, v33, s14 dst_sel:DWORD dst_unused:UNUSED_PAD src0_sel:WORD_1 src1_sel:DWORD
	;; [unrolled: 3-line block ×4, first 2 shown]
	v_fma_f16 v67, v30, s22, v66
	v_mul_f16_sdwa v68, v24, s6 dst_sel:DWORD dst_unused:UNUSED_PAD src0_sel:WORD_1 src1_sel:DWORD
	v_add_f16_e32 v67, v67, v29
	v_fma_f16 v69, v31, s9, v68
	v_fma_f16 v36, v23, s1, v36
	v_add_f16_e32 v67, v69, v67
	v_mul_f16_sdwa v69, v25, s25 dst_sel:DWORD dst_unused:UNUSED_PAD src0_sel:WORD_1 src1_sel:DWORD
	v_add_f16_sdwa v36, v36, v29 dst_sel:DWORD dst_unused:UNUSED_PAD src0_sel:DWORD src1_sel:WORD_1
	v_fma_f16 v39, v24, s25, v39
	v_fma_f16 v70, v32, s16, v69
	v_add_f16_e32 v36, v39, v36
	v_fma_f16 v39, v25, s8, v43
	v_add_f16_e32 v67, v70, v67
	v_mul_f16_sdwa v70, v26, s19 dst_sel:DWORD dst_unused:UNUSED_PAD src0_sel:WORD_1 src1_sel:DWORD
	v_add_f16_e32 v36, v39, v36
	v_fma_f16 v39, v26, s17, v45
	v_fma_f16 v71, v33, s14, v70
	v_add_f16_e32 v36, v39, v36
	v_fma_f16 v39, v27, s6, v47
	v_add_f16_e32 v67, v71, v67
	v_mul_f16_sdwa v71, v27, s0 dst_sel:DWORD dst_unused:UNUSED_PAD src0_sel:WORD_1 src1_sel:DWORD
	v_add_f16_e32 v36, v39, v36
	v_fma_f16 v39, v30, s14, -v50
	v_fma_f16 v72, v34, s15, v71
	v_add_f16_e32 v39, v39, v29
	v_fma_f16 v43, v31, s16, -v56
	v_add_f16_e32 v67, v72, v67
	v_mul_f16_sdwa v72, v30, s15 dst_sel:DWORD dst_unused:UNUSED_PAD src0_sel:WORD_1 src1_sel:DWORD
	v_add_f16_e32 v39, v43, v39
	v_fma_f16 v43, v32, s22, -v57
	v_fma_f16 v73, v23, s0, v72
	v_mul_f16_sdwa v74, v31, s22 dst_sel:DWORD dst_unused:UNUSED_PAD src0_sel:WORD_1 src1_sel:DWORD
	v_add_f16_e32 v39, v43, v39
	v_fma_f16 v43, v33, s15, -v58
	v_add_f16_sdwa v73, v73, v29 dst_sel:DWORD dst_unused:UNUSED_PAD src0_sel:DWORD src1_sel:WORD_1
	v_fma_f16 v75, v24, s8, v74
	v_add_f16_e32 v39, v43, v39
	v_fma_f16 v43, v34, s9, -v59
	v_add_f16_e32 v73, v75, v73
	v_mul_f16_sdwa v75, v32, s14 dst_sel:DWORD dst_unused:UNUSED_PAD src0_sel:WORD_1 src1_sel:DWORD
	v_add_f16_e32 v39, v43, v39
	v_fma_f16 v43, v23, s23, v60
	v_fma_f16 v76, v25, s19, v75
	v_add_f16_sdwa v43, v43, v29 dst_sel:DWORD dst_unused:UNUSED_PAD src0_sel:DWORD src1_sel:WORD_1
	v_fma_f16 v45, v24, s6, v62
	v_add_f16_e32 v73, v76, v73
	v_mul_f16_sdwa v76, v33, s9 dst_sel:DWORD dst_unused:UNUSED_PAD src0_sel:WORD_1 src1_sel:DWORD
	v_add_f16_e32 v43, v45, v43
	v_fma_f16 v45, v25, s25, v63
	v_fma_f16 v77, v26, s24, v76
	v_add_f16_e32 v43, v45, v43
	v_fma_f16 v45, v26, s19, v64
	v_add_f16_e32 v73, v77, v73
	v_mul_f16_sdwa v77, v34, s16 dst_sel:DWORD dst_unused:UNUSED_PAD src0_sel:WORD_1 src1_sel:DWORD
	v_add_f16_e32 v43, v45, v43
	v_fma_f16 v45, v27, s0, v65
	v_fma_f16 v78, v27, s25, v77
	v_add_f16_e32 v43, v45, v43
	v_fma_f16 v45, v30, s22, -v66
	v_add_f16_e32 v73, v78, v73
	v_mul_f16_sdwa v78, v23, s17 dst_sel:DWORD dst_unused:UNUSED_PAD src0_sel:WORD_1 src1_sel:DWORD
	v_add_f16_e32 v45, v45, v29
	v_fma_f16 v47, v31, s9, -v68
	v_fma_f16 v79, v30, s15, v78
	v_mul_f16_sdwa v80, v24, s23 dst_sel:DWORD dst_unused:UNUSED_PAD src0_sel:WORD_1 src1_sel:DWORD
	v_add_f16_e32 v45, v47, v45
	v_fma_f16 v47, v32, s16, -v69
	v_add_f16_e32 v79, v79, v29
	v_fma_f16 v81, v31, s22, v80
	v_add_f16_e32 v45, v47, v45
	v_fma_f16 v47, v33, s14, -v70
	v_add_f16_e32 v79, v81, v79
	v_mul_f16_sdwa v81, v25, s1 dst_sel:DWORD dst_unused:UNUSED_PAD src0_sel:WORD_1 src1_sel:DWORD
	v_add_f16_e32 v45, v47, v45
	v_fma_f16 v47, v34, s15, -v71
	v_fma_f16 v82, v32, s14, v81
	v_add_f16_e32 v45, v47, v45
	v_fma_f16 v47, v23, s17, v72
	v_fma_f16 v30, v30, s15, -v78
	v_add_f16_e32 v79, v82, v79
	v_mul_f16_sdwa v82, v26, s6 dst_sel:DWORD dst_unused:UNUSED_PAD src0_sel:WORD_1 src1_sel:DWORD
	v_add_f16_sdwa v47, v47, v29 dst_sel:DWORD dst_unused:UNUSED_PAD src0_sel:DWORD src1_sel:WORD_1
	v_add_f16_e32 v29, v30, v29
	v_fma_f16 v30, v31, s22, -v80
	v_fma_f16 v83, v33, s9, v82
	v_add_f16_e32 v29, v30, v29
	v_fma_f16 v30, v32, s14, -v81
	v_add_f16_e32 v79, v83, v79
	v_mul_f16_sdwa v83, v27, s7 dst_sel:DWORD dst_unused:UNUSED_PAD src0_sel:WORD_1 src1_sel:DWORD
	v_add_f16_e32 v29, v30, v29
	v_fma_f16 v30, v33, s9, -v82
	v_add_f16_e32 v29, v30, v29
	v_fma_f16 v30, v34, s16, -v83
	v_add_f16_e32 v29, v30, v29
	v_alignbit_b32 v30, s0, v44, 16
	v_pk_add_f16 v30, v11, v30
	v_alignbit_b32 v11, s0, v11, 16
	v_pk_add_f16 v30, v30, v12
	;; [unrolled: 2-line block ×3, first 2 shown]
	v_pk_add_f16 v11, v11, v12
	v_alignbit_b32 v12, s0, v13, 16
	v_pk_add_f16 v11, v11, v12
	v_pk_add_f16 v12, v30, v13
	v_pk_add_f16 v12, v12, v14
	v_alignbit_b32 v13, s0, v14, 16
	v_pk_add_f16 v11, v11, v13
	v_alignbit_b32 v13, s0, v15, 16
	v_pk_add_f16 v12, v12, v15
	v_pk_add_f16 v11, v11, v13
	v_pk_add_f16 v12, v12, v16
	v_alignbit_b32 v13, s0, v16, 16
	;; [unrolled: 6-line block ×3, first 2 shown]
	v_fma_f16 v84, v34, s16, v83
	v_pk_add_f16 v10, v11, v10
	v_alignbit_b32 v11, s0, v6, 16
	v_pk_add_f16 v6, v9, v6
	v_add_f16_e32 v79, v84, v79
	v_pk_add_f16 v10, v10, v11
	v_alignbit_b32 v11, s0, v7, 16
	v_pk_add_f16 v6, v6, v7
	v_mul_u32_u24_e32 v7, 40, v5
	v_pk_add_f16 v10, v10, v11
	s_mov_b32 s9, 0x1000504
	v_add3_u32 v13, v20, v7, v18
	v_pack_b32_f16 v7, v67, v61
	v_pack_b32_f16 v9, v79, v73
	v_perm_b32 v6, v6, v10, s9
	ds_write2_b32 v13, v9, v7 offset0:1 offset1:2
	v_pack_b32_f16 v7, v52, v37
	v_mul_f16_e32 v12, 0x3b47, v27
	ds_write2_b32 v13, v6, v7 offset1:3
	ds_write_b16 v13, v35 offset:16
	v_pk_add_f16 v6, v38, v44
	v_pk_add_f16 v6, v40, v6
	v_bfi_b32 v7, s18, v12, v54
	v_pk_add_f16 v6, v41, v6
	v_pk_add_f16 v7, v28, v7 neg_lo:[0,1] neg_hi:[0,1]
	v_pk_fma_f16 v9, v27, s1, v55 op_sel:[0,0,1] op_sel_hi:[1,0,0]
	v_pk_add_f16 v6, v42, v6
	v_bfi_b32 v7, s18, v7, v9
	v_pk_add_f16 v9, v7, v6
	v_pk_fma_f16 v6, v23, s7, v46 op_sel:[0,0,1] op_sel_hi:[1,0,0] neg_lo:[1,0,0] neg_hi:[1,0,0]
	v_pk_add_f16 v6, v6, v44
	v_pk_fma_f16 v7, v24, s0, v48 op_sel:[0,0,1] op_sel_hi:[1,0,0] neg_lo:[1,0,0] neg_hi:[1,0,0]
	v_fma_f16 v50, v24, s23, v74
	v_pk_add_f16 v6, v7, v6
	v_pk_fma_f16 v7, v25, s6, v51 op_sel:[0,0,1] op_sel_hi:[1,0,0] neg_lo:[1,0,0] neg_hi:[1,0,0]
	v_add_f16_e32 v47, v50, v47
	v_fma_f16 v50, v25, s1, v75
	v_pk_add_f16 v6, v7, v6
	v_pk_fma_f16 v7, v26, s8, v53 op_sel:[0,0,1] op_sel_hi:[1,0,0] neg_lo:[1,0,0] neg_hi:[1,0,0]
	v_add_f16_e32 v47, v50, v47
	v_fma_f16 v50, v26, s6, v76
	v_pk_add_f16 v6, v7, v6
	v_pk_fma_f16 v7, v27, s1, v55 op_sel:[0,0,1] op_sel_hi:[1,0,0] neg_lo:[1,0,0] neg_hi:[1,0,0]
	s_mov_b32 s0, 0x5040100
	v_add_f16_e32 v47, v50, v47
	v_fma_f16 v50, v27, s7, v77
	v_pk_add_f16 v10, v7, v6
	v_perm_b32 v11, v8, v49, s0
	v_perm_b32 v12, v39, v21, s0
	v_pack_b32_f16 v7, v43, v29
	v_pack_b32_f16 v6, v36, v45
	v_add_f16_e32 v47, v50, v47
	ds_write_b128 v13, v[9:12] offset:18
	ds_write_b64 v13, v[6:7] offset:34
	ds_write_b16 v13, v47 offset:42
.LBB0_14:
	s_or_b64 exec, exec, s[4:5]
	v_add_u32_e32 v9, -11, v5
	v_cmp_gt_u32_e64 s[0:1], 11, v5
	v_cndmask_b32_e64 v29, v9, v5, s[0:1]
	v_mul_i32_i24_e32 v10, 6, v29
	v_mov_b32_e32 v11, 0
	v_lshlrev_b64 v[6:7], 2, v[10:11]
	s_load_dwordx2 s[4:5], s[2:3], 0x0
	v_mov_b32_e32 v10, s13
	v_add_co_u32_e64 v6, s[2:3], s12, v6
	v_addc_co_u32_e64 v7, s[2:3], v10, v7, s[2:3]
	s_waitcnt lgkmcnt(0)
	s_barrier
	global_load_dwordx4 v[12:15], v[6:7], off
	global_load_dwordx2 v[23:24], v[6:7], off offset:16
	ds_read2_b32 v[6:7], v19 offset0:22 offset1:44
	ds_read_b32 v10, v22
	ds_read2_b32 v[25:26], v19 offset0:66 offset1:88
	ds_read2_b32 v[27:28], v19 offset0:110 offset1:132
	s_movk_i32 s2, 0x2b26
	s_waitcnt lgkmcnt(3)
	v_lshrrev_b32_e32 v16, 16, v6
	v_lshrrev_b32_e32 v30, 16, v7
	s_waitcnt lgkmcnt(1)
	v_lshrrev_b32_e32 v31, 16, v25
	v_lshrrev_b32_e32 v32, 16, v26
	;; [unrolled: 3-line block ×3, first 2 shown]
	s_mov_b32 s6, 0xbcab
	s_mov_b32 s3, 0xbb00
	s_waitcnt vmcnt(0)
	s_barrier
	v_mul_f16_sdwa v35, v12, v16 dst_sel:DWORD dst_unused:UNUSED_PAD src0_sel:WORD_1 src1_sel:DWORD
	v_mul_f16_sdwa v36, v12, v6 dst_sel:DWORD dst_unused:UNUSED_PAD src0_sel:WORD_1 src1_sel:DWORD
	;; [unrolled: 1-line block ×12, first 2 shown]
	v_fma_f16 v6, v12, v6, v35
	v_fma_f16 v12, v12, v16, -v36
	v_fma_f16 v7, v13, v7, v37
	v_fma_f16 v13, v13, v30, -v38
	v_fma_f16 v16, v14, v25, v39
	v_fma_f16 v25, v15, v26, v41
	;; [unrolled: 1-line block ×3, first 2 shown]
	v_fma_f16 v23, v23, v33, -v44
	v_fma_f16 v27, v24, v28, v45
	v_fma_f16 v24, v24, v34, -v46
	v_fma_f16 v14, v14, v31, -v40
	;; [unrolled: 1-line block ×3, first 2 shown]
	v_add_f16_e32 v28, v6, v27
	v_add_f16_e32 v30, v12, v24
	v_sub_f16_e32 v6, v6, v27
	v_sub_f16_e32 v12, v12, v24
	v_add_f16_e32 v24, v7, v26
	v_add_f16_e32 v27, v13, v23
	v_sub_f16_e32 v7, v7, v26
	v_sub_f16_e32 v13, v13, v23
	;; [unrolled: 4-line block ×4, first 2 shown]
	v_sub_f16_e32 v28, v28, v23
	v_sub_f16_e32 v30, v30, v26
	;; [unrolled: 1-line block ×3, first 2 shown]
	v_add_f16_e32 v33, v16, v7
	v_sub_f16_e32 v35, v16, v7
	v_add_f16_e32 v15, v23, v15
	v_add_f16_e32 v23, v26, v25
	v_sub_f16_e32 v27, v26, v27
	v_add_f16_e32 v34, v14, v13
	v_sub_f16_e32 v36, v14, v13
	v_sub_f16_e32 v16, v6, v16
	;; [unrolled: 1-line block ×3, first 2 shown]
	v_add_f16_e32 v6, v33, v6
	v_mul_f16_e32 v25, 0x3a52, v28
	v_mul_f16_e32 v26, 0x3a52, v30
	;; [unrolled: 1-line block ×3, first 2 shown]
	v_add_f16_e32 v35, v15, v10
	v_add_f16_sdwa v10, v23, v10 dst_sel:DWORD dst_unused:UNUSED_PAD src0_sel:DWORD src1_sel:WORD_1
	v_sub_f16_e32 v14, v12, v14
	v_sub_f16_e32 v13, v13, v12
	v_add_f16_e32 v12, v34, v12
	v_mul_f16_e32 v28, 0x2b26, v24
	v_mul_f16_e32 v30, 0x2b26, v27
	;; [unrolled: 1-line block ×3, first 2 shown]
	v_lshlrev_b32_e32 v36, 16, v10
	v_fma_f16 v10, v23, s6, v10
	v_fma_f16 v23, v24, s2, v25
	v_fma_f16 v24, v27, s2, v26
	s_movk_i32 s2, 0x39e0
	v_fma_f16 v27, v31, s2, -v28
	v_fma_f16 v28, v32, s2, -v30
	s_mov_b32 s2, 0xb9e0
	v_fma_f16 v25, v31, s2, -v25
	v_fma_f16 v26, v32, s2, -v26
	s_mov_b32 s2, 0xb574
	v_mul_f16_e32 v37, 0xbb00, v7
	v_mul_f16_e32 v38, 0xbb00, v13
	v_fma_f16 v30, v16, s2, v33
	v_fma_f16 v31, v14, s2, v34
	s_movk_i32 s2, 0x3574
	v_fma_f16 v15, v15, s6, v35
	v_fma_f16 v7, v7, s3, -v33
	v_fma_f16 v16, v16, s2, -v37
	v_fma_f16 v14, v14, s2, -v38
	s_mov_b32 s2, 0xb70e
	v_fma_f16 v13, v13, s3, -v34
	v_add_f16_e32 v23, v23, v15
	v_add_f16_e32 v24, v24, v10
	;; [unrolled: 1-line block ×6, first 2 shown]
	v_fma_f16 v25, v6, s2, v30
	v_fma_f16 v7, v6, s2, v7
	;; [unrolled: 1-line block ×6, first 2 shown]
	v_sub_f16_e32 v32, v10, v6
	v_add_f16_e32 v6, v6, v10
	v_mov_b32_e32 v10, 0x134
	v_cmp_lt_u32_e64 s[2:3], 10, v5
	v_cndmask_b32_e64 v10, 0, v10, s[2:3]
	v_add_f16_e32 v14, v26, v23
	v_sub_f16_e32 v30, v24, v25
	v_add_f16_e32 v31, v12, v15
	v_sub_f16_e32 v33, v27, v13
	v_add_f16_e32 v13, v13, v27
	v_sub_f16_e32 v27, v28, v7
	v_sub_f16_e32 v12, v15, v12
	v_add_u32_e32 v10, 0, v10
	v_lshlrev_b32_e32 v15, 2, v29
	v_or_b32_e32 v36, v36, v35
	v_add_f16_e32 v34, v7, v28
	v_sub_f16_e32 v7, v23, v26
	v_add_f16_e32 v16, v25, v24
	v_add3_u32 v10, v10, v15, v18
	v_pack_b32_f16 v14, v14, v30
	v_pack_b32_f16 v13, v13, v27
	v_pack_b32_f16 v6, v12, v6
	ds_write2_b32 v10, v36, v14 offset1:11
	v_pack_b32_f16 v14, v31, v32
	v_pack_b32_f16 v15, v33, v34
	ds_write2_b32 v10, v13, v6 offset0:44 offset1:55
	v_pack_b32_f16 v6, v7, v16
	ds_write2_b32 v10, v14, v15 offset0:22 offset1:33
	ds_write_b32 v10, v6 offset:264
	s_waitcnt lgkmcnt(0)
	s_barrier
	ds_read2_b32 v[14:15], v19 offset0:77 offset1:99
	ds_read2_b32 v[12:13], v19 offset0:22 offset1:44
	ds_read_b32 v10, v22
	ds_read_b32 v18, v19 offset:484
	s_and_saveexec_b64 s[2:3], s[0:1]
	s_cbranch_execz .LBB0_16
; %bb.15:
	ds_read2_b32 v[7:8], v19 offset0:66 offset1:143
	v_add_u32_e32 v9, 0x42, v5
	s_waitcnt lgkmcnt(0)
	v_lshrrev_b32_e32 v16, 16, v7
	v_lshrrev_b32_e32 v21, 16, v8
.LBB0_16:
	s_or_b64 exec, exec, s[2:3]
	v_mov_b32_e32 v6, v11
	v_lshlrev_b64 v[22:23], 2, v[5:6]
	v_mov_b32_e32 v6, s13
	v_add_co_u32_e64 v22, s[2:3], s12, v22
	v_addc_co_u32_e64 v23, s[2:3], v6, v23, s[2:3]
	global_load_dword v6, v[22:23], off offset:352
	global_load_dword v11, v[22:23], off offset:440
	;; [unrolled: 1-line block ×3, first 2 shown]
	s_mov_b32 s2, 0xffff
	v_lshl_add_u32 v17, v17, 2, v20
	s_waitcnt lgkmcnt(1)
	v_lshrrev_b32_e32 v20, 16, v10
	s_waitcnt vmcnt(0) lgkmcnt(0)
	s_barrier
	v_pk_mul_f16 v22, v6, v15 op_sel:[0,1]
	v_pk_mul_f16 v23, v11, v18 op_sel:[0,1]
	;; [unrolled: 1-line block ×3, first 2 shown]
	v_pk_fma_f16 v26, v6, v15, v22 op_sel:[0,0,1] op_sel_hi:[1,1,0]
	v_pk_fma_f16 v6, v6, v15, v22 op_sel:[0,0,1] op_sel_hi:[1,0,0] neg_lo:[1,0,0] neg_hi:[1,0,0]
	v_pk_fma_f16 v15, v11, v18, v23 op_sel:[0,0,1] op_sel_hi:[1,1,0]
	v_pk_fma_f16 v11, v11, v18, v23 op_sel:[0,0,1] op_sel_hi:[1,0,0] neg_lo:[1,0,0] neg_hi:[1,0,0]
	v_pk_fma_f16 v18, v24, v14, v25 op_sel:[0,0,1] op_sel_hi:[1,1,0]
	v_pk_fma_f16 v14, v24, v14, v25 op_sel:[0,0,1] op_sel_hi:[1,0,0] neg_lo:[1,0,0] neg_hi:[1,0,0]
	v_bfi_b32 v14, s2, v18, v14
	v_bfi_b32 v11, s2, v15, v11
	v_pk_add_f16 v14, v10, v14 neg_lo:[0,1] neg_hi:[0,1]
	v_pk_add_f16 v11, v13, v11 neg_lo:[0,1] neg_hi:[0,1]
	v_lshrrev_b32_e32 v15, 16, v14
	v_bfi_b32 v6, s2, v26, v6
	v_pk_fma_f16 v13, v13, 2.0, v11 op_sel_hi:[1,0,1] neg_lo:[0,0,1] neg_hi:[0,0,1]
	v_fma_f16 v15, v20, 2.0, -v15
	v_pk_add_f16 v6, v12, v6 neg_lo:[0,1] neg_hi:[0,1]
	v_fma_f16 v10, v10, 2.0, -v14
	ds_write2_b32 v19, v13, v14 offset0:44 offset1:77
	v_lshlrev_b32_e32 v13, 16, v15
	v_pk_fma_f16 v12, v12, 2.0, v6 op_sel_hi:[1,0,1] neg_lo:[0,0,1] neg_hi:[0,0,1]
	v_or_b32_sdwa v10, v13, v10 dst_sel:DWORD dst_unused:UNUSED_PAD src0_sel:DWORD src1_sel:WORD_0
	ds_write2_b32 v19, v10, v12 offset1:22
	ds_write2_b32 v17, v6, v11 offset0:99 offset1:121
	s_and_saveexec_b64 s[2:3], s[0:1]
	s_cbranch_execz .LBB0_18
; %bb.17:
	v_mov_b32_e32 v10, 0
	v_lshlrev_b64 v[9:10], 2, v[9:10]
	v_mov_b32_e32 v6, s13
	v_add_co_u32_e64 v9, s[0:1], s12, v9
	v_addc_co_u32_e64 v10, s[0:1], v6, v10, s[0:1]
	global_load_dword v6, v[9:10], off offset:264
	s_waitcnt vmcnt(0)
	v_mul_f16_sdwa v9, v21, v6 dst_sel:DWORD dst_unused:UNUSED_PAD src0_sel:DWORD src1_sel:WORD_1
	v_mul_f16_sdwa v10, v8, v6 dst_sel:DWORD dst_unused:UNUSED_PAD src0_sel:DWORD src1_sel:WORD_1
	v_fma_f16 v8, v8, v6, v9
	v_fma_f16 v6, v21, v6, -v10
	v_sub_f16_e32 v8, v7, v8
	v_sub_f16_e32 v6, v16, v6
	v_fma_f16 v7, v7, 2.0, -v8
	v_fma_f16 v9, v16, 2.0, -v6
	v_pack_b32_f16 v7, v7, v9
	v_pack_b32_f16 v6, v8, v6
	ds_write2_b32 v19, v7, v6 offset0:66 offset1:143
.LBB0_18:
	s_or_b64 exec, exec, s[2:3]
	s_waitcnt lgkmcnt(0)
	s_barrier
	s_and_saveexec_b64 s[0:1], vcc
	s_cbranch_execz .LBB0_20
; %bb.19:
	v_mul_lo_u32 v9, s5, v3
	v_mul_lo_u32 v10, s4, v4
	v_mad_u64_u32 v[3:4], s[0:1], s4, v3, 0
	v_mad_u64_u32 v[6:7], s[0:1], s20, v5, 0
	v_add3_u32 v4, v4, v10, v9
	v_lshlrev_b64 v[3:4], 2, v[3:4]
	v_lshl_add_u32 v10, v5, 2, v0
	v_mov_b32_e32 v0, s11
	v_add_co_u32_e32 v3, vcc, s10, v3
	v_addc_co_u32_e32 v4, vcc, v0, v4, vcc
	v_lshlrev_b64 v[0:1], 2, v[1:2]
	v_mad_u64_u32 v[7:8], s[0:1], s21, v5, v[7:8]
	v_add_co_u32_e32 v11, vcc, v3, v0
	v_addc_co_u32_e32 v12, vcc, v4, v1, vcc
	v_add_u32_e32 v4, 22, v5
	v_mad_u64_u32 v[2:3], s[0:1], s20, v4, 0
	ds_read2_b32 v[8:9], v10 offset1:22
	v_lshlrev_b64 v[0:1], 2, v[6:7]
	v_mad_u64_u32 v[3:4], s[0:1], s21, v4, v[3:4]
	v_add_u32_e32 v4, 44, v5
	v_mad_u64_u32 v[6:7], s[0:1], s20, v4, 0
	v_add_co_u32_e32 v0, vcc, v11, v0
	v_addc_co_u32_e32 v1, vcc, v12, v1, vcc
	s_waitcnt lgkmcnt(0)
	global_store_dword v[0:1], v8, off
	v_lshlrev_b64 v[0:1], 2, v[2:3]
	v_mov_b32_e32 v2, v7
	v_mad_u64_u32 v[2:3], s[0:1], s21, v4, v[2:3]
	v_add_u32_e32 v8, 0x42, v5
	v_add_co_u32_e32 v0, vcc, v11, v0
	v_mov_b32_e32 v7, v2
	v_lshlrev_b64 v[2:3], 2, v[6:7]
	v_mad_u64_u32 v[6:7], s[0:1], s20, v8, 0
	v_addc_co_u32_e32 v1, vcc, v12, v1, vcc
	v_mov_b32_e32 v4, v7
	global_store_dword v[0:1], v9, off
	ds_read2_b32 v[0:1], v10 offset0:44 offset1:66
	v_mad_u64_u32 v[7:8], s[0:1], s21, v8, v[4:5]
	v_add_u32_e32 v4, 0x58, v5
	v_mad_u64_u32 v[8:9], s[0:1], s20, v4, 0
	v_add_co_u32_e32 v2, vcc, v11, v2
	v_addc_co_u32_e32 v3, vcc, v12, v3, vcc
	s_waitcnt lgkmcnt(0)
	global_store_dword v[2:3], v0, off
	v_mov_b32_e32 v0, v9
	v_lshlrev_b64 v[2:3], 2, v[6:7]
	v_mad_u64_u32 v[6:7], s[0:1], s21, v4, v[0:1]
	v_add_co_u32_e32 v2, vcc, v11, v2
	v_addc_co_u32_e32 v3, vcc, v12, v3, vcc
	v_mov_b32_e32 v9, v6
	global_store_dword v[2:3], v1, off
	v_lshlrev_b64 v[2:3], 2, v[8:9]
	v_add_u32_e32 v8, 0x6e, v5
	v_mad_u64_u32 v[6:7], s[0:1], s20, v8, 0
	ds_read2_b32 v[0:1], v10 offset0:88 offset1:110
	v_add_co_u32_e32 v2, vcc, v11, v2
	v_mov_b32_e32 v4, v7
	v_mad_u64_u32 v[7:8], s[0:1], s21, v8, v[4:5]
	v_add_u32_e32 v8, 0x84, v5
	v_mad_u64_u32 v[4:5], s[0:1], s20, v8, 0
	v_addc_co_u32_e32 v3, vcc, v12, v3, vcc
	s_waitcnt lgkmcnt(0)
	global_store_dword v[2:3], v0, off
	v_lshlrev_b64 v[2:3], 2, v[6:7]
	v_mov_b32_e32 v0, v5
	v_mad_u64_u32 v[5:6], s[0:1], s21, v8, v[0:1]
	v_add_co_u32_e32 v2, vcc, v11, v2
	v_addc_co_u32_e32 v3, vcc, v12, v3, vcc
	global_store_dword v[2:3], v1, off
	ds_read_b32 v2, v10 offset:528
	v_lshlrev_b64 v[0:1], 2, v[4:5]
	v_add_co_u32_e32 v0, vcc, v11, v0
	v_addc_co_u32_e32 v1, vcc, v12, v1, vcc
	s_waitcnt lgkmcnt(0)
	global_store_dword v[0:1], v2, off
.LBB0_20:
	s_endpgm
	.section	.rodata,"a",@progbits
	.p2align	6, 0x0
	.amdhsa_kernel fft_rtc_back_len154_factors_11_7_2_wgs_110_tpt_22_half_op_CI_CI_sbrr_dirReg
		.amdhsa_group_segment_fixed_size 0
		.amdhsa_private_segment_fixed_size 0
		.amdhsa_kernarg_size 104
		.amdhsa_user_sgpr_count 6
		.amdhsa_user_sgpr_private_segment_buffer 1
		.amdhsa_user_sgpr_dispatch_ptr 0
		.amdhsa_user_sgpr_queue_ptr 0
		.amdhsa_user_sgpr_kernarg_segment_ptr 1
		.amdhsa_user_sgpr_dispatch_id 0
		.amdhsa_user_sgpr_flat_scratch_init 0
		.amdhsa_user_sgpr_private_segment_size 0
		.amdhsa_uses_dynamic_stack 0
		.amdhsa_system_sgpr_private_segment_wavefront_offset 0
		.amdhsa_system_sgpr_workgroup_id_x 1
		.amdhsa_system_sgpr_workgroup_id_y 0
		.amdhsa_system_sgpr_workgroup_id_z 0
		.amdhsa_system_sgpr_workgroup_info 0
		.amdhsa_system_vgpr_workitem_id 0
		.amdhsa_next_free_vgpr 85
		.amdhsa_next_free_sgpr 32
		.amdhsa_reserve_vcc 1
		.amdhsa_reserve_flat_scratch 0
		.amdhsa_float_round_mode_32 0
		.amdhsa_float_round_mode_16_64 0
		.amdhsa_float_denorm_mode_32 3
		.amdhsa_float_denorm_mode_16_64 3
		.amdhsa_dx10_clamp 1
		.amdhsa_ieee_mode 1
		.amdhsa_fp16_overflow 0
		.amdhsa_exception_fp_ieee_invalid_op 0
		.amdhsa_exception_fp_denorm_src 0
		.amdhsa_exception_fp_ieee_div_zero 0
		.amdhsa_exception_fp_ieee_overflow 0
		.amdhsa_exception_fp_ieee_underflow 0
		.amdhsa_exception_fp_ieee_inexact 0
		.amdhsa_exception_int_div_zero 0
	.end_amdhsa_kernel
	.text
.Lfunc_end0:
	.size	fft_rtc_back_len154_factors_11_7_2_wgs_110_tpt_22_half_op_CI_CI_sbrr_dirReg, .Lfunc_end0-fft_rtc_back_len154_factors_11_7_2_wgs_110_tpt_22_half_op_CI_CI_sbrr_dirReg
                                        ; -- End function
	.section	.AMDGPU.csdata,"",@progbits
; Kernel info:
; codeLenInByte = 6236
; NumSgprs: 36
; NumVgprs: 85
; ScratchSize: 0
; MemoryBound: 0
; FloatMode: 240
; IeeeMode: 1
; LDSByteSize: 0 bytes/workgroup (compile time only)
; SGPRBlocks: 4
; VGPRBlocks: 21
; NumSGPRsForWavesPerEU: 36
; NumVGPRsForWavesPerEU: 85
; Occupancy: 2
; WaveLimiterHint : 1
; COMPUTE_PGM_RSRC2:SCRATCH_EN: 0
; COMPUTE_PGM_RSRC2:USER_SGPR: 6
; COMPUTE_PGM_RSRC2:TRAP_HANDLER: 0
; COMPUTE_PGM_RSRC2:TGID_X_EN: 1
; COMPUTE_PGM_RSRC2:TGID_Y_EN: 0
; COMPUTE_PGM_RSRC2:TGID_Z_EN: 0
; COMPUTE_PGM_RSRC2:TIDIG_COMP_CNT: 0
	.type	__hip_cuid_7cb02bff4a35583c,@object ; @__hip_cuid_7cb02bff4a35583c
	.section	.bss,"aw",@nobits
	.globl	__hip_cuid_7cb02bff4a35583c
__hip_cuid_7cb02bff4a35583c:
	.byte	0                               ; 0x0
	.size	__hip_cuid_7cb02bff4a35583c, 1

	.ident	"AMD clang version 19.0.0git (https://github.com/RadeonOpenCompute/llvm-project roc-6.4.0 25133 c7fe45cf4b819c5991fe208aaa96edf142730f1d)"
	.section	".note.GNU-stack","",@progbits
	.addrsig
	.addrsig_sym __hip_cuid_7cb02bff4a35583c
	.amdgpu_metadata
---
amdhsa.kernels:
  - .args:
      - .actual_access:  read_only
        .address_space:  global
        .offset:         0
        .size:           8
        .value_kind:     global_buffer
      - .offset:         8
        .size:           8
        .value_kind:     by_value
      - .actual_access:  read_only
        .address_space:  global
        .offset:         16
        .size:           8
        .value_kind:     global_buffer
      - .actual_access:  read_only
        .address_space:  global
        .offset:         24
        .size:           8
        .value_kind:     global_buffer
      - .actual_access:  read_only
        .address_space:  global
        .offset:         32
        .size:           8
        .value_kind:     global_buffer
      - .offset:         40
        .size:           8
        .value_kind:     by_value
      - .actual_access:  read_only
        .address_space:  global
        .offset:         48
        .size:           8
        .value_kind:     global_buffer
      - .actual_access:  read_only
        .address_space:  global
        .offset:         56
        .size:           8
        .value_kind:     global_buffer
      - .offset:         64
        .size:           4
        .value_kind:     by_value
      - .actual_access:  read_only
        .address_space:  global
        .offset:         72
        .size:           8
        .value_kind:     global_buffer
      - .actual_access:  read_only
        .address_space:  global
        .offset:         80
        .size:           8
        .value_kind:     global_buffer
      - .actual_access:  read_only
        .address_space:  global
        .offset:         88
        .size:           8
        .value_kind:     global_buffer
      - .actual_access:  write_only
        .address_space:  global
        .offset:         96
        .size:           8
        .value_kind:     global_buffer
    .group_segment_fixed_size: 0
    .kernarg_segment_align: 8
    .kernarg_segment_size: 104
    .language:       OpenCL C
    .language_version:
      - 2
      - 0
    .max_flat_workgroup_size: 110
    .name:           fft_rtc_back_len154_factors_11_7_2_wgs_110_tpt_22_half_op_CI_CI_sbrr_dirReg
    .private_segment_fixed_size: 0
    .sgpr_count:     36
    .sgpr_spill_count: 0
    .symbol:         fft_rtc_back_len154_factors_11_7_2_wgs_110_tpt_22_half_op_CI_CI_sbrr_dirReg.kd
    .uniform_work_group_size: 1
    .uses_dynamic_stack: false
    .vgpr_count:     85
    .vgpr_spill_count: 0
    .wavefront_size: 64
amdhsa.target:   amdgcn-amd-amdhsa--gfx906
amdhsa.version:
  - 1
  - 2
...

	.end_amdgpu_metadata
